;; amdgpu-corpus repo=ROCm/rocFFT kind=compiled arch=gfx1201 opt=O3
	.text
	.amdgcn_target "amdgcn-amd-amdhsa--gfx1201"
	.amdhsa_code_object_version 6
	.protected	fft_rtc_back_len1760_factors_2_2_2_2_2_11_5_wgs_176_tpt_176_halfLds_sp_ip_CI_unitstride_sbrr_C2R_dirReg ; -- Begin function fft_rtc_back_len1760_factors_2_2_2_2_2_11_5_wgs_176_tpt_176_halfLds_sp_ip_CI_unitstride_sbrr_C2R_dirReg
	.globl	fft_rtc_back_len1760_factors_2_2_2_2_2_11_5_wgs_176_tpt_176_halfLds_sp_ip_CI_unitstride_sbrr_C2R_dirReg
	.p2align	8
	.type	fft_rtc_back_len1760_factors_2_2_2_2_2_11_5_wgs_176_tpt_176_halfLds_sp_ip_CI_unitstride_sbrr_C2R_dirReg,@function
fft_rtc_back_len1760_factors_2_2_2_2_2_11_5_wgs_176_tpt_176_halfLds_sp_ip_CI_unitstride_sbrr_C2R_dirReg: ; @fft_rtc_back_len1760_factors_2_2_2_2_2_11_5_wgs_176_tpt_176_halfLds_sp_ip_CI_unitstride_sbrr_C2R_dirReg
; %bb.0:
	s_clause 0x2
	s_load_b128 s[4:7], s[0:1], 0x0
	s_load_b64 s[8:9], s[0:1], 0x50
	s_load_b64 s[10:11], s[0:1], 0x18
	v_mul_u32_u24_e32 v1, 0x175, v0
	v_mov_b32_e32 v3, 0
	s_delay_alu instid0(VALU_DEP_2) | instskip(NEXT) | instid1(VALU_DEP_1)
	v_lshrrev_b32_e32 v1, 16, v1
	v_add_nc_u32_e32 v5, ttmp9, v1
	v_mov_b32_e32 v1, 0
	v_mov_b32_e32 v2, 0
	;; [unrolled: 1-line block ×3, first 2 shown]
	s_wait_kmcnt 0x0
	v_cmp_lt_u64_e64 s2, s[6:7], 2
	s_delay_alu instid0(VALU_DEP_1)
	s_and_b32 vcc_lo, exec_lo, s2
	s_cbranch_vccnz .LBB0_8
; %bb.1:
	s_load_b64 s[2:3], s[0:1], 0x10
	v_mov_b32_e32 v1, 0
	v_mov_b32_e32 v2, 0
	s_add_nc_u64 s[12:13], s[10:11], 8
	s_mov_b64 s[14:15], 1
	s_wait_kmcnt 0x0
	s_add_nc_u64 s[16:17], s[2:3], 8
	s_mov_b32 s3, 0
.LBB0_2:                                ; =>This Inner Loop Header: Depth=1
	s_load_b64 s[18:19], s[16:17], 0x0
                                        ; implicit-def: $vgpr7_vgpr8
	s_mov_b32 s2, exec_lo
	s_wait_kmcnt 0x0
	v_or_b32_e32 v4, s19, v6
	s_delay_alu instid0(VALU_DEP_1)
	v_cmpx_ne_u64_e32 0, v[3:4]
	s_wait_alu 0xfffe
	s_xor_b32 s20, exec_lo, s2
	s_cbranch_execz .LBB0_4
; %bb.3:                                ;   in Loop: Header=BB0_2 Depth=1
	s_cvt_f32_u32 s2, s18
	s_cvt_f32_u32 s21, s19
	s_sub_nc_u64 s[24:25], 0, s[18:19]
	s_wait_alu 0xfffe
	s_delay_alu instid0(SALU_CYCLE_1) | instskip(SKIP_1) | instid1(SALU_CYCLE_2)
	s_fmamk_f32 s2, s21, 0x4f800000, s2
	s_wait_alu 0xfffe
	v_s_rcp_f32 s2, s2
	s_delay_alu instid0(TRANS32_DEP_1) | instskip(SKIP_1) | instid1(SALU_CYCLE_2)
	s_mul_f32 s2, s2, 0x5f7ffffc
	s_wait_alu 0xfffe
	s_mul_f32 s21, s2, 0x2f800000
	s_wait_alu 0xfffe
	s_delay_alu instid0(SALU_CYCLE_2) | instskip(SKIP_1) | instid1(SALU_CYCLE_2)
	s_trunc_f32 s21, s21
	s_wait_alu 0xfffe
	s_fmamk_f32 s2, s21, 0xcf800000, s2
	s_cvt_u32_f32 s23, s21
	s_wait_alu 0xfffe
	s_delay_alu instid0(SALU_CYCLE_1) | instskip(SKIP_1) | instid1(SALU_CYCLE_2)
	s_cvt_u32_f32 s22, s2
	s_wait_alu 0xfffe
	s_mul_u64 s[26:27], s[24:25], s[22:23]
	s_wait_alu 0xfffe
	s_mul_hi_u32 s29, s22, s27
	s_mul_i32 s28, s22, s27
	s_mul_hi_u32 s2, s22, s26
	s_mul_i32 s30, s23, s26
	s_wait_alu 0xfffe
	s_add_nc_u64 s[28:29], s[2:3], s[28:29]
	s_mul_hi_u32 s21, s23, s26
	s_mul_hi_u32 s31, s23, s27
	s_add_co_u32 s2, s28, s30
	s_wait_alu 0xfffe
	s_add_co_ci_u32 s2, s29, s21
	s_mul_i32 s26, s23, s27
	s_add_co_ci_u32 s27, s31, 0
	s_wait_alu 0xfffe
	s_add_nc_u64 s[26:27], s[2:3], s[26:27]
	s_wait_alu 0xfffe
	v_add_co_u32 v4, s2, s22, s26
	s_delay_alu instid0(VALU_DEP_1) | instskip(SKIP_1) | instid1(VALU_DEP_1)
	s_cmp_lg_u32 s2, 0
	s_add_co_ci_u32 s23, s23, s27
	v_readfirstlane_b32 s22, v4
	s_wait_alu 0xfffe
	s_delay_alu instid0(VALU_DEP_1)
	s_mul_u64 s[24:25], s[24:25], s[22:23]
	s_wait_alu 0xfffe
	s_mul_hi_u32 s27, s22, s25
	s_mul_i32 s26, s22, s25
	s_mul_hi_u32 s2, s22, s24
	s_mul_i32 s28, s23, s24
	s_wait_alu 0xfffe
	s_add_nc_u64 s[26:27], s[2:3], s[26:27]
	s_mul_hi_u32 s21, s23, s24
	s_mul_hi_u32 s22, s23, s25
	s_wait_alu 0xfffe
	s_add_co_u32 s2, s26, s28
	s_add_co_ci_u32 s2, s27, s21
	s_mul_i32 s24, s23, s25
	s_add_co_ci_u32 s25, s22, 0
	s_wait_alu 0xfffe
	s_add_nc_u64 s[24:25], s[2:3], s[24:25]
	s_wait_alu 0xfffe
	v_add_co_u32 v4, s2, v4, s24
	s_delay_alu instid0(VALU_DEP_1) | instskip(SKIP_1) | instid1(VALU_DEP_1)
	s_cmp_lg_u32 s2, 0
	s_add_co_ci_u32 s2, s23, s25
	v_mul_hi_u32 v13, v5, v4
	s_wait_alu 0xfffe
	v_mad_co_u64_u32 v[7:8], null, v5, s2, 0
	v_mad_co_u64_u32 v[9:10], null, v6, v4, 0
	;; [unrolled: 1-line block ×3, first 2 shown]
	s_delay_alu instid0(VALU_DEP_3) | instskip(SKIP_1) | instid1(VALU_DEP_4)
	v_add_co_u32 v4, vcc_lo, v13, v7
	s_wait_alu 0xfffd
	v_add_co_ci_u32_e32 v7, vcc_lo, 0, v8, vcc_lo
	s_delay_alu instid0(VALU_DEP_2) | instskip(SKIP_1) | instid1(VALU_DEP_2)
	v_add_co_u32 v4, vcc_lo, v4, v9
	s_wait_alu 0xfffd
	v_add_co_ci_u32_e32 v4, vcc_lo, v7, v10, vcc_lo
	s_wait_alu 0xfffd
	v_add_co_ci_u32_e32 v7, vcc_lo, 0, v12, vcc_lo
	s_delay_alu instid0(VALU_DEP_2) | instskip(SKIP_1) | instid1(VALU_DEP_2)
	v_add_co_u32 v4, vcc_lo, v4, v11
	s_wait_alu 0xfffd
	v_add_co_ci_u32_e32 v9, vcc_lo, 0, v7, vcc_lo
	s_delay_alu instid0(VALU_DEP_2) | instskip(SKIP_1) | instid1(VALU_DEP_3)
	v_mul_lo_u32 v10, s19, v4
	v_mad_co_u64_u32 v[7:8], null, s18, v4, 0
	v_mul_lo_u32 v11, s18, v9
	s_delay_alu instid0(VALU_DEP_2) | instskip(NEXT) | instid1(VALU_DEP_2)
	v_sub_co_u32 v7, vcc_lo, v5, v7
	v_add3_u32 v8, v8, v11, v10
	s_delay_alu instid0(VALU_DEP_1) | instskip(SKIP_1) | instid1(VALU_DEP_1)
	v_sub_nc_u32_e32 v10, v6, v8
	s_wait_alu 0xfffd
	v_subrev_co_ci_u32_e64 v10, s2, s19, v10, vcc_lo
	v_add_co_u32 v11, s2, v4, 2
	s_wait_alu 0xf1ff
	v_add_co_ci_u32_e64 v12, s2, 0, v9, s2
	v_sub_co_u32 v13, s2, v7, s18
	v_sub_co_ci_u32_e32 v8, vcc_lo, v6, v8, vcc_lo
	s_wait_alu 0xf1ff
	v_subrev_co_ci_u32_e64 v10, s2, 0, v10, s2
	s_delay_alu instid0(VALU_DEP_3) | instskip(NEXT) | instid1(VALU_DEP_3)
	v_cmp_le_u32_e32 vcc_lo, s18, v13
	v_cmp_eq_u32_e64 s2, s19, v8
	s_wait_alu 0xfffd
	v_cndmask_b32_e64 v13, 0, -1, vcc_lo
	v_cmp_le_u32_e32 vcc_lo, s19, v10
	s_wait_alu 0xfffd
	v_cndmask_b32_e64 v14, 0, -1, vcc_lo
	v_cmp_le_u32_e32 vcc_lo, s18, v7
	;; [unrolled: 3-line block ×3, first 2 shown]
	s_wait_alu 0xfffd
	v_cndmask_b32_e64 v15, 0, -1, vcc_lo
	v_cmp_eq_u32_e32 vcc_lo, s19, v10
	s_wait_alu 0xf1ff
	s_delay_alu instid0(VALU_DEP_2)
	v_cndmask_b32_e64 v7, v15, v7, s2
	s_wait_alu 0xfffd
	v_cndmask_b32_e32 v10, v14, v13, vcc_lo
	v_add_co_u32 v13, vcc_lo, v4, 1
	s_wait_alu 0xfffd
	v_add_co_ci_u32_e32 v14, vcc_lo, 0, v9, vcc_lo
	s_delay_alu instid0(VALU_DEP_3) | instskip(SKIP_2) | instid1(VALU_DEP_3)
	v_cmp_ne_u32_e32 vcc_lo, 0, v10
	s_wait_alu 0xfffd
	v_cndmask_b32_e32 v10, v13, v11, vcc_lo
	v_cndmask_b32_e32 v8, v14, v12, vcc_lo
	v_cmp_ne_u32_e32 vcc_lo, 0, v7
	s_wait_alu 0xfffd
	s_delay_alu instid0(VALU_DEP_2)
	v_dual_cndmask_b32 v7, v4, v10 :: v_dual_cndmask_b32 v8, v9, v8
.LBB0_4:                                ;   in Loop: Header=BB0_2 Depth=1
	s_wait_alu 0xfffe
	s_and_not1_saveexec_b32 s2, s20
	s_cbranch_execz .LBB0_6
; %bb.5:                                ;   in Loop: Header=BB0_2 Depth=1
	v_cvt_f32_u32_e32 v4, s18
	s_sub_co_i32 s20, 0, s18
	s_delay_alu instid0(VALU_DEP_1) | instskip(NEXT) | instid1(TRANS32_DEP_1)
	v_rcp_iflag_f32_e32 v4, v4
	v_mul_f32_e32 v4, 0x4f7ffffe, v4
	s_delay_alu instid0(VALU_DEP_1) | instskip(SKIP_1) | instid1(VALU_DEP_1)
	v_cvt_u32_f32_e32 v4, v4
	s_wait_alu 0xfffe
	v_mul_lo_u32 v7, s20, v4
	s_delay_alu instid0(VALU_DEP_1) | instskip(NEXT) | instid1(VALU_DEP_1)
	v_mul_hi_u32 v7, v4, v7
	v_add_nc_u32_e32 v4, v4, v7
	s_delay_alu instid0(VALU_DEP_1) | instskip(NEXT) | instid1(VALU_DEP_1)
	v_mul_hi_u32 v4, v5, v4
	v_mul_lo_u32 v7, v4, s18
	v_add_nc_u32_e32 v8, 1, v4
	s_delay_alu instid0(VALU_DEP_2) | instskip(NEXT) | instid1(VALU_DEP_1)
	v_sub_nc_u32_e32 v7, v5, v7
	v_subrev_nc_u32_e32 v9, s18, v7
	v_cmp_le_u32_e32 vcc_lo, s18, v7
	s_wait_alu 0xfffd
	s_delay_alu instid0(VALU_DEP_2) | instskip(NEXT) | instid1(VALU_DEP_1)
	v_dual_cndmask_b32 v7, v7, v9 :: v_dual_cndmask_b32 v4, v4, v8
	v_cmp_le_u32_e32 vcc_lo, s18, v7
	s_delay_alu instid0(VALU_DEP_2) | instskip(SKIP_1) | instid1(VALU_DEP_1)
	v_add_nc_u32_e32 v8, 1, v4
	s_wait_alu 0xfffd
	v_dual_cndmask_b32 v7, v4, v8 :: v_dual_mov_b32 v8, v3
.LBB0_6:                                ;   in Loop: Header=BB0_2 Depth=1
	s_wait_alu 0xfffe
	s_or_b32 exec_lo, exec_lo, s2
	s_load_b64 s[20:21], s[12:13], 0x0
	s_delay_alu instid0(VALU_DEP_1)
	v_mul_lo_u32 v4, v8, s18
	v_mul_lo_u32 v11, v7, s19
	v_mad_co_u64_u32 v[9:10], null, v7, s18, 0
	s_add_nc_u64 s[14:15], s[14:15], 1
	s_add_nc_u64 s[12:13], s[12:13], 8
	s_wait_alu 0xfffe
	v_cmp_ge_u64_e64 s2, s[14:15], s[6:7]
	s_add_nc_u64 s[16:17], s[16:17], 8
	s_delay_alu instid0(VALU_DEP_2) | instskip(NEXT) | instid1(VALU_DEP_3)
	v_add3_u32 v4, v10, v11, v4
	v_sub_co_u32 v5, vcc_lo, v5, v9
	s_wait_alu 0xfffd
	s_delay_alu instid0(VALU_DEP_2) | instskip(SKIP_3) | instid1(VALU_DEP_2)
	v_sub_co_ci_u32_e32 v4, vcc_lo, v6, v4, vcc_lo
	s_and_b32 vcc_lo, exec_lo, s2
	s_wait_kmcnt 0x0
	v_mul_lo_u32 v6, s21, v5
	v_mul_lo_u32 v4, s20, v4
	v_mad_co_u64_u32 v[1:2], null, s20, v5, v[1:2]
	s_delay_alu instid0(VALU_DEP_1)
	v_add3_u32 v2, v6, v2, v4
	s_wait_alu 0xfffe
	s_cbranch_vccnz .LBB0_9
; %bb.7:                                ;   in Loop: Header=BB0_2 Depth=1
	v_dual_mov_b32 v5, v7 :: v_dual_mov_b32 v6, v8
	s_branch .LBB0_2
.LBB0_8:
	v_dual_mov_b32 v8, v6 :: v_dual_mov_b32 v7, v5
.LBB0_9:
	s_lshl_b64 s[2:3], s[6:7], 3
	v_mul_hi_u32 v5, 0x1745d18, v0
	s_wait_alu 0xfffe
	s_add_nc_u64 s[2:3], s[10:11], s[2:3]
	s_load_b64 s[2:3], s[2:3], 0x0
	s_load_b64 s[0:1], s[0:1], 0x20
	s_wait_kmcnt 0x0
	v_mul_lo_u32 v3, s2, v8
	v_mul_lo_u32 v4, s3, v7
	v_mad_co_u64_u32 v[1:2], null, s2, v7, v[1:2]
	v_cmp_gt_u64_e32 vcc_lo, s[0:1], v[7:8]
	s_delay_alu instid0(VALU_DEP_2) | instskip(SKIP_1) | instid1(VALU_DEP_2)
	v_add3_u32 v2, v4, v2, v3
	v_mul_u32_u24_e32 v3, 0xb0, v5
	v_lshlrev_b64_e32 v[42:43], 3, v[1:2]
	s_delay_alu instid0(VALU_DEP_2)
	v_sub_nc_u32_e32 v40, v0, v3
	s_and_saveexec_b32 s1, vcc_lo
	s_cbranch_execz .LBB0_13
; %bb.10:
	s_delay_alu instid0(VALU_DEP_1)
	v_lshl_add_u32 v22, v40, 3, 0
	v_mov_b32_e32 v41, 0
	v_add_co_u32 v0, s0, s8, v42
	s_wait_alu 0xf1ff
	v_add_co_ci_u32_e64 v1, s0, s9, v43, s0
	v_add_nc_u32_e32 v24, 0x1400, v22
	v_lshlrev_b64_e32 v[2:3], 3, v[40:41]
	v_add_nc_u32_e32 v23, 0xa00, v22
	v_add_nc_u32_e32 v25, 0x2000, v22
	s_mov_b32 s2, exec_lo
	v_add_nc_u32_e32 v26, 0x2c00, v22
	s_delay_alu instid0(VALU_DEP_4)
	v_add_co_u32 v2, s0, v0, v2
	s_wait_alu 0xf1ff
	v_add_co_ci_u32_e64 v3, s0, v1, v3, s0
	s_clause 0x9
	global_load_b64 v[4:5], v[2:3], off
	global_load_b64 v[6:7], v[2:3], off offset:1408
	global_load_b64 v[8:9], v[2:3], off offset:2816
	;; [unrolled: 1-line block ×9, first 2 shown]
	s_wait_loadcnt 0x8
	ds_store_2addr_b64 v22, v[4:5], v[6:7] offset1:176
	s_wait_loadcnt 0x6
	ds_store_2addr_b64 v23, v[8:9], v[10:11] offset0:32 offset1:208
	s_wait_loadcnt 0x4
	ds_store_2addr_b64 v24, v[12:13], v[14:15] offset0:64 offset1:240
	;; [unrolled: 2-line block ×3, first 2 shown]
	s_wait_loadcnt 0x0
	ds_store_2addr_b64 v26, v[20:21], v[2:3] offset1:176
	v_cmpx_eq_u32_e32 0xaf, v40
	s_cbranch_execz .LBB0_12
; %bb.11:
	global_load_b64 v[0:1], v[0:1], off offset:14080
	v_mov_b32_e32 v40, 0xaf
	s_wait_loadcnt 0x0
	ds_store_b64 v41, v[0:1] offset:14080
.LBB0_12:
	s_wait_alu 0xfffe
	s_or_b32 exec_lo, exec_lo, s2
.LBB0_13:
	s_wait_alu 0xfffe
	s_or_b32 exec_lo, exec_lo, s1
	v_lshlrev_b32_e32 v0, 3, v40
	global_wb scope:SCOPE_SE
	s_wait_dscnt 0x0
	s_barrier_signal -1
	s_barrier_wait -1
	global_inv scope:SCOPE_SE
	v_add_nc_u32_e32 v46, 0, v0
	v_sub_nc_u32_e32 v4, 0, v0
	s_mov_b32 s1, exec_lo
                                        ; implicit-def: $vgpr2_vgpr3
	ds_load_b32 v5, v46
	ds_load_b32 v6, v4 offset:14080
	s_wait_dscnt 0x0
	v_dual_sub_f32 v1, v5, v6 :: v_dual_add_f32 v0, v6, v5
	v_cmpx_ne_u32_e32 0, v40
	s_wait_alu 0xfffe
	s_xor_b32 s1, exec_lo, s1
	s_cbranch_execz .LBB0_15
; %bb.14:
	v_dual_mov_b32 v41, 0 :: v_dual_sub_f32 v8, v5, v6
	s_delay_alu instid0(VALU_DEP_1) | instskip(NEXT) | instid1(VALU_DEP_1)
	v_lshlrev_b64_e32 v[0:1], 3, v[40:41]
	v_add_co_u32 v0, s0, s4, v0
	s_wait_alu 0xf1ff
	s_delay_alu instid0(VALU_DEP_2)
	v_add_co_ci_u32_e64 v1, s0, s5, v1, s0
	global_load_b64 v[2:3], v[0:1], off offset:14064
	ds_load_b32 v0, v4 offset:14084
	ds_load_b32 v1, v46 offset:4
	v_add_f32_e32 v7, v6, v5
	s_wait_dscnt 0x0
	v_dual_add_f32 v9, v0, v1 :: v_dual_sub_f32 v0, v1, v0
	s_wait_loadcnt 0x0
	s_delay_alu instid0(VALU_DEP_2) | instskip(NEXT) | instid1(VALU_DEP_2)
	v_fma_f32 v5, -v8, v3, v7
	v_fma_f32 v6, v9, v3, -v0
	v_fma_f32 v10, v8, v3, v7
	v_fma_f32 v1, v9, v3, v0
	s_delay_alu instid0(VALU_DEP_3) | instskip(NEXT) | instid1(VALU_DEP_3)
	v_dual_fmac_f32 v5, v2, v9 :: v_dual_fmac_f32 v6, v8, v2
	v_fma_f32 v0, -v2, v9, v10
	s_delay_alu instid0(VALU_DEP_3)
	v_fmac_f32_e32 v1, v8, v2
	v_dual_mov_b32 v2, v40 :: v_dual_mov_b32 v3, v41
	ds_store_b64 v4, v[5:6] offset:14080
.LBB0_15:
	s_wait_alu 0xfffe
	s_and_not1_saveexec_b32 s0, s1
	s_cbranch_execz .LBB0_17
; %bb.16:
	v_mov_b32_e32 v7, 0
	ds_load_b64 v[2:3], v7 offset:7040
	s_wait_dscnt 0x0
	v_dual_mul_f32 v6, -2.0, v3 :: v_dual_add_f32 v5, v2, v2
	v_mov_b32_e32 v2, 0
	v_mov_b32_e32 v3, 0
	ds_store_b64 v7, v[5:6] offset:7040
.LBB0_17:
	s_wait_alu 0xfffe
	s_or_b32 exec_lo, exec_lo, s0
	v_lshlrev_b64_e32 v[2:3], 3, v[2:3]
	s_add_nc_u64 s[0:1], s[4:5], 0x36f0
	v_lshl_add_u32 v27, v40, 3, v46
	v_add_nc_u32_e32 v20, 0x1400, v46
	v_add_nc_u32_e32 v26, 0x2c0, v40
	s_wait_alu 0xfffe
	v_add_co_u32 v2, s0, s0, v2
	s_wait_alu 0xf1ff
	v_add_co_ci_u32_e64 v3, s0, s1, v3, s0
	s_clause 0x3
	global_load_b64 v[5:6], v[2:3], off offset:1408
	global_load_b64 v[7:8], v[2:3], off offset:2816
	;; [unrolled: 1-line block ×4, first 2 shown]
	ds_store_b64 v46, v[0:1]
	ds_load_b64 v[0:1], v46 offset:1408
	ds_load_b64 v[11:12], v4 offset:12672
	v_cmp_gt_u32_e64 s0, 0xa0, v40
	v_lshl_add_u32 v32, v26, 4, 0
	s_wait_dscnt 0x0
	v_add_f32_e32 v13, v0, v11
	v_add_f32_e32 v14, v12, v1
	v_dual_sub_f32 v15, v0, v11 :: v_dual_sub_f32 v0, v1, v12
	s_wait_loadcnt 0x3
	s_delay_alu instid0(VALU_DEP_1) | instskip(NEXT) | instid1(VALU_DEP_2)
	v_fma_f32 v16, v15, v6, v13
	v_fma_f32 v1, v14, v6, v0
	v_fma_f32 v11, -v15, v6, v13
	v_fma_f32 v12, v14, v6, -v0
	s_delay_alu instid0(VALU_DEP_4) | instskip(NEXT) | instid1(VALU_DEP_4)
	v_fma_f32 v0, -v5, v14, v16
	v_fmac_f32_e32 v1, v15, v5
	s_delay_alu instid0(VALU_DEP_3)
	v_dual_fmac_f32 v11, v5, v14 :: v_dual_fmac_f32 v12, v15, v5
	ds_store_b64 v46, v[0:1] offset:1408
	ds_store_b64 v4, v[11:12] offset:12672
	ds_load_b64 v[0:1], v46 offset:2816
	ds_load_b64 v[5:6], v4 offset:11264
	s_wait_dscnt 0x0
	v_add_f32_e32 v11, v0, v5
	v_add_f32_e32 v12, v6, v1
	v_dual_sub_f32 v13, v0, v5 :: v_dual_sub_f32 v0, v1, v6
	s_wait_loadcnt 0x2
	s_delay_alu instid0(VALU_DEP_1) | instskip(NEXT) | instid1(VALU_DEP_2)
	v_fma_f32 v14, v13, v8, v11
	v_fma_f32 v1, v12, v8, v0
	v_fma_f32 v5, -v13, v8, v11
	v_fma_f32 v6, v12, v8, -v0
	s_delay_alu instid0(VALU_DEP_4) | instskip(NEXT) | instid1(VALU_DEP_4)
	v_fma_f32 v0, -v7, v12, v14
	v_fmac_f32_e32 v1, v13, v7
	s_delay_alu instid0(VALU_DEP_3)
	v_dual_fmac_f32 v5, v7, v12 :: v_dual_fmac_f32 v6, v13, v7
	ds_store_b64 v46, v[0:1] offset:2816
	ds_store_b64 v4, v[5:6] offset:11264
	ds_load_b64 v[0:1], v46 offset:4224
	ds_load_b64 v[5:6], v4 offset:9856
	;; [unrolled: 19-line block ×3, first 2 shown]
	s_wait_dscnt 0x0
	v_add_f32_e32 v7, v0, v5
	v_sub_f32_e32 v0, v0, v5
	v_add_f32_e32 v9, v6, v1
	v_sub_f32_e32 v1, v1, v6
	s_wait_loadcnt 0x0
	s_delay_alu instid0(VALU_DEP_3) | instskip(SKIP_1) | instid1(VALU_DEP_3)
	v_fma_f32 v5, v0, v3, v7
	v_fma_f32 v7, -v0, v3, v7
	v_fma_f32 v8, v9, v3, -v1
	s_delay_alu instid0(VALU_DEP_1) | instskip(SKIP_2) | instid1(VALU_DEP_2)
	v_fmac_f32_e32 v8, v0, v2
	v_fma_f32 v6, v9, v3, v1
	v_fma_f32 v5, -v2, v9, v5
	v_dual_fmac_f32 v7, v2, v9 :: v_dual_fmac_f32 v6, v0, v2
	ds_store_b64 v46, v[5:6] offset:5632
	ds_store_b64 v4, v[7:8] offset:8448
	global_wb scope:SCOPE_SE
	s_wait_dscnt 0x0
	s_barrier_signal -1
	s_barrier_wait -1
	global_inv scope:SCOPE_SE
	global_wb scope:SCOPE_SE
	s_barrier_signal -1
	s_barrier_wait -1
	global_inv scope:SCOPE_SE
	ds_load_2addr_b64 v[3:6], v46 offset1:176
	ds_load_2addr_b64 v[7:10], v20 offset0:64 offset1:240
	v_add_nc_u32_e32 v1, 0x2000, v46
	v_add_nc_u32_e32 v0, 0xa00, v46
	;; [unrolled: 1-line block ×4, first 2 shown]
	v_and_b32_e32 v28, 1, v40
	ds_load_2addr_b64 v[11:14], v1 offset0:32 offset1:208
	ds_load_2addr_b64 v[15:18], v0 offset0:32 offset1:208
	ds_load_2addr_b64 v[21:24], v2 offset1:176
	v_add_nc_u32_e32 v19, 0x160, v40
	v_add_nc_u32_e32 v25, 0x210, v40
	global_wb scope:SCOPE_SE
	s_wait_dscnt 0x0
	s_barrier_signal -1
	s_barrier_wait -1
	global_inv scope:SCOPE_SE
	v_dual_sub_f32 v9, v3, v9 :: v_dual_sub_f32 v10, v4, v10
	v_lshl_add_u32 v29, v41, 4, 0
	s_delay_alu instid0(VALU_DEP_2)
	v_fma_f32 v3, v3, 2.0, -v9
	v_dual_sub_f32 v11, v5, v11 :: v_dual_sub_f32 v12, v6, v12
	v_dual_sub_f32 v24, v8, v24 :: v_dual_sub_f32 v13, v15, v13
	;; [unrolled: 1-line block ×4, first 2 shown]
	v_fma_f32 v4, v4, 2.0, -v10
	v_fma_f32 v5, v5, 2.0, -v11
	;; [unrolled: 1-line block ×3, first 2 shown]
	v_lshl_add_u32 v30, v19, 4, 0
	v_fma_f32 v15, v15, 2.0, -v13
	v_fma_f32 v16, v16, 2.0, -v14
	v_lshl_add_u32 v31, v25, 4, 0
	v_fma_f32 v17, v17, 2.0, -v21
	v_fma_f32 v18, v18, 2.0, -v22
	;; [unrolled: 1-line block ×4, first 2 shown]
	ds_store_2addr_b64 v27, v[3:4], v[9:10] offset1:1
	ds_store_2addr_b64 v29, v[5:6], v[11:12] offset1:1
	;; [unrolled: 1-line block ×5, first 2 shown]
	v_lshlrev_b32_e32 v6, 1, v41
	global_wb scope:SCOPE_SE
	s_wait_dscnt 0x0
	s_barrier_signal -1
	s_barrier_wait -1
	global_inv scope:SCOPE_SE
	ds_load_2addr_b64 v[8:11], v20 offset0:64 offset1:240
	v_lshlrev_b32_e32 v33, 3, v28
	ds_load_2addr_b64 v[12:15], v1 offset0:32 offset1:208
	v_and_or_b32 v22, 0x3fc, v6, v28
	global_load_b64 v[29:30], v33, s[4:5]
	v_lshlrev_b32_e32 v7, 1, v19
	ds_load_2addr_b64 v[16:19], v2 offset1:176
	v_lshlrev_b32_e32 v3, 1, v40
	v_lshlrev_b32_e32 v4, 1, v25
	v_lshl_add_u32 v34, v22, 3, 0
	s_wait_loadcnt_dscnt 0x1
	v_dual_mul_f32 v44, v30, v13 :: v_dual_and_b32 v31, 3, v40
	v_lshlrev_b32_e32 v5, 1, v26
	v_and_or_b32 v21, 0x1fc, v3, v28
	v_mul_f32_e32 v39, v30, v10
	v_and_or_b32 v24, 0x7fc, v4, v28
	v_fmac_f32_e32 v44, v29, v12
	v_and_or_b32 v25, 0x7fc, v5, v28
	s_wait_dscnt 0x0
	v_mul_f32_e32 v50, v30, v16
	v_and_or_b32 v23, 0x7fc, v7, v28
	v_lshl_add_u32 v33, v21, 3, 0
	v_lshl_add_u32 v36, v24, 3, 0
	v_lshl_add_u32 v37, v25, 3, 0
	v_mul_f32_e32 v38, v30, v11
	v_lshl_add_u32 v35, v23, 3, 0
	ds_load_2addr_b64 v[21:24], v46 offset1:176
	ds_load_2addr_b64 v[25:28], v0 offset0:32 offset1:208
	v_mul_f32_e32 v49, v30, v17
	v_dual_mul_f32 v45, v30, v12 :: v_dual_fmac_f32 v38, v29, v10
	v_mul_f32_e32 v47, v30, v15
	v_mul_f32_e32 v48, v30, v14
	v_fma_f32 v11, v29, v11, -v39
	s_delay_alu instid0(VALU_DEP_4)
	v_fma_f32 v13, v29, v13, -v45
	v_fma_f32 v17, v29, v17, -v50
	global_wb scope:SCOPE_SE
	s_wait_dscnt 0x0
	v_fma_f32 v15, v29, v15, -v48
	s_barrier_signal -1
	s_barrier_wait -1
	global_inv scope:SCOPE_SE
	v_sub_f32_e32 v10, v21, v38
	v_sub_f32_e32 v12, v23, v44
	v_fmac_f32_e32 v49, v29, v16
	v_mul_f32_e32 v51, v30, v19
	v_mul_f32_e32 v30, v30, v18
	v_sub_f32_e32 v11, v22, v11
	s_delay_alu instid0(VALU_DEP_4) | instskip(NEXT) | instid1(VALU_DEP_4)
	v_dual_sub_f32 v15, v26, v15 :: v_dual_sub_f32 v16, v27, v49
	v_fmac_f32_e32 v51, v29, v18
	v_fmac_f32_e32 v47, v29, v14
	v_fma_f32 v19, v29, v19, -v30
	v_dual_sub_f32 v17, v28, v17 :: v_dual_lshlrev_b32 v32, 3, v31
	s_delay_alu instid0(VALU_DEP_4) | instskip(NEXT) | instid1(VALU_DEP_4)
	v_sub_f32_e32 v18, v8, v51
	v_dual_sub_f32 v13, v24, v13 :: v_dual_sub_f32 v14, v25, v47
	s_delay_alu instid0(VALU_DEP_4)
	v_sub_f32_e32 v19, v9, v19
	v_fma_f32 v21, v21, 2.0, -v10
	v_fma_f32 v22, v22, 2.0, -v11
	;; [unrolled: 1-line block ×10, first 2 shown]
	ds_store_2addr_b64 v33, v[21:22], v[10:11] offset1:2
	ds_store_2addr_b64 v34, v[23:24], v[12:13] offset1:2
	;; [unrolled: 1-line block ×5, first 2 shown]
	global_wb scope:SCOPE_SE
	s_wait_dscnt 0x0
	s_barrier_signal -1
	s_barrier_wait -1
	global_inv scope:SCOPE_SE
	global_load_b64 v[29:30], v32, s[4:5] offset:16
	ds_load_2addr_b64 v[12:15], v1 offset0:32 offset1:208
	ds_load_2addr_b64 v[8:11], v20 offset0:64 offset1:240
	ds_load_2addr_b64 v[16:19], v2 offset1:176
	v_and_or_b32 v21, 0x1f8, v3, v31
	v_and_or_b32 v22, 0x3f8, v6, v31
	;; [unrolled: 1-line block ×5, first 2 shown]
	v_lshl_add_u32 v31, v21, 3, 0
	v_lshl_add_u32 v34, v22, 3, 0
	v_lshl_add_u32 v35, v23, 3, 0
	v_lshl_add_u32 v36, v24, 3, 0
	v_lshl_add_u32 v37, v25, 3, 0
	ds_load_2addr_b64 v[21:24], v46 offset1:176
	ds_load_2addr_b64 v[25:28], v0 offset0:32 offset1:208
	v_and_b32_e32 v32, 7, v40
	global_wb scope:SCOPE_SE
	s_wait_loadcnt_dscnt 0x0
	s_barrier_signal -1
	s_barrier_wait -1
	global_inv scope:SCOPE_SE
	v_dual_mul_f32 v44, v30, v13 :: v_dual_lshlrev_b32 v33, 3, v32
	v_mul_f32_e32 v38, v30, v11
	v_mul_f32_e32 v49, v30, v17
	;; [unrolled: 1-line block ×4, first 2 shown]
	v_dual_fmac_f32 v44, v29, v12 :: v_dual_mul_f32 v39, v30, v10
	v_dual_fmac_f32 v38, v29, v10 :: v_dual_mul_f32 v45, v30, v12
	s_delay_alu instid0(VALU_DEP_4)
	v_fmac_f32_e32 v51, v29, v18
	v_fmac_f32_e32 v49, v29, v16
	v_mul_f32_e32 v47, v30, v15
	v_mul_f32_e32 v50, v30, v16
	;; [unrolled: 1-line block ×3, first 2 shown]
	v_sub_f32_e32 v12, v23, v44
	v_fma_f32 v11, v29, v11, -v39
	v_sub_f32_e32 v10, v21, v38
	v_fma_f32 v13, v29, v13, -v45
	v_fma_f32 v15, v29, v15, -v48
	v_sub_f32_e32 v18, v8, v51
	v_dual_sub_f32 v16, v27, v49 :: v_dual_fmac_f32 v47, v29, v14
	v_fma_f32 v17, v29, v17, -v50
	v_fma_f32 v19, v29, v19, -v30
	v_sub_f32_e32 v11, v22, v11
	s_delay_alu instid0(VALU_DEP_4)
	v_dual_sub_f32 v13, v24, v13 :: v_dual_sub_f32 v14, v25, v47
	v_sub_f32_e32 v15, v26, v15
	v_sub_f32_e32 v17, v28, v17
	;; [unrolled: 1-line block ×3, first 2 shown]
	v_fma_f32 v21, v21, 2.0, -v10
	v_fma_f32 v22, v22, 2.0, -v11
	;; [unrolled: 1-line block ×10, first 2 shown]
	ds_store_2addr_b64 v31, v[21:22], v[10:11] offset1:4
	ds_store_2addr_b64 v34, v[23:24], v[12:13] offset1:4
	;; [unrolled: 1-line block ×5, first 2 shown]
	global_wb scope:SCOPE_SE
	s_wait_dscnt 0x0
	s_barrier_signal -1
	s_barrier_wait -1
	global_inv scope:SCOPE_SE
	global_load_b64 v[29:30], v33, s[4:5] offset:48
	ds_load_2addr_b64 v[16:19], v2 offset1:176
	ds_load_2addr_b64 v[12:15], v1 offset0:32 offset1:208
	ds_load_2addr_b64 v[8:11], v20 offset0:64 offset1:240
	v_and_or_b32 v21, 0x1f0, v3, v32
	v_and_or_b32 v22, 0x3f0, v6, v32
	;; [unrolled: 1-line block ×5, first 2 shown]
	v_lshl_add_u32 v32, v21, 3, 0
	v_lshl_add_u32 v34, v22, 3, 0
	;; [unrolled: 1-line block ×5, first 2 shown]
	ds_load_2addr_b64 v[21:24], v46 offset1:176
	ds_load_2addr_b64 v[25:28], v0 offset0:32 offset1:208
	v_and_b32_e32 v31, 15, v40
	global_wb scope:SCOPE_SE
	s_wait_loadcnt_dscnt 0x0
	s_barrier_signal -1
	s_barrier_wait -1
	global_inv scope:SCOPE_SE
	v_mul_f32_e32 v51, v30, v19
	v_mul_f32_e32 v47, v30, v15
	;; [unrolled: 1-line block ×5, first 2 shown]
	v_fmac_f32_e32 v51, v29, v18
	v_mul_f32_e32 v49, v30, v17
	v_fmac_f32_e32 v47, v29, v14
	v_mul_f32_e32 v39, v30, v10
	v_mul_f32_e32 v50, v30, v16
	v_fmac_f32_e32 v38, v29, v10
	v_fmac_f32_e32 v49, v29, v16
	v_mul_f32_e32 v45, v30, v12
	v_mul_f32_e32 v30, v30, v18
	v_sub_f32_e32 v14, v25, v47
	v_fma_f32 v11, v29, v11, -v39
	v_sub_f32_e32 v16, v27, v49
	v_fmac_f32_e32 v44, v29, v12
	v_fma_f32 v13, v29, v13, -v45
	v_fma_f32 v15, v29, v15, -v48
	;; [unrolled: 1-line block ×4, first 2 shown]
	v_dual_sub_f32 v10, v21, v38 :: v_dual_sub_f32 v11, v22, v11
	v_dual_sub_f32 v12, v23, v44 :: v_dual_lshlrev_b32 v33, 3, v31
	v_sub_f32_e32 v13, v24, v13
	v_sub_f32_e32 v15, v26, v15
	;; [unrolled: 1-line block ×5, first 2 shown]
	v_fma_f32 v21, v21, 2.0, -v10
	v_fma_f32 v22, v22, 2.0, -v11
	;; [unrolled: 1-line block ×10, first 2 shown]
	ds_store_2addr_b64 v32, v[21:22], v[10:11] offset1:8
	ds_store_2addr_b64 v34, v[23:24], v[12:13] offset1:8
	;; [unrolled: 1-line block ×5, first 2 shown]
	global_wb scope:SCOPE_SE
	s_wait_dscnt 0x0
	s_barrier_signal -1
	s_barrier_wait -1
	global_inv scope:SCOPE_SE
	global_load_b64 v[29:30], v33, s[4:5] offset:112
	ds_load_2addr_b64 v[12:15], v2 offset1:176
	ds_load_2addr_b64 v[8:11], v1 offset0:32 offset1:208
	ds_load_2addr_b64 v[16:19], v20 offset0:64 offset1:240
	ds_load_2addr_b64 v[21:24], v46 offset1:176
	ds_load_2addr_b64 v[25:28], v0 offset0:32 offset1:208
	v_and_or_b32 v1, 0x1e0, v3, v31
	v_and_or_b32 v3, 0x3e0, v6, v31
	;; [unrolled: 1-line block ×5, first 2 shown]
	v_lshl_add_u32 v31, v1, 3, 0
	v_lshl_add_u32 v32, v3, 3, 0
	;; [unrolled: 1-line block ×5, first 2 shown]
	global_wb scope:SCOPE_SE
	s_wait_loadcnt_dscnt 0x0
	s_barrier_signal -1
	s_barrier_wait -1
	global_inv scope:SCOPE_SE
                                        ; implicit-def: $vgpr45
	v_mul_f32_e32 v36, v30, v13
	v_mul_f32_e32 v37, v30, v15
	;; [unrolled: 1-line block ×5, first 2 shown]
	v_dual_fmac_f32 v36, v29, v12 :: v_dual_mul_f32 v5, v30, v11
	v_mul_f32_e32 v6, v30, v12
	v_mul_f32_e32 v7, v30, v14
	v_fmac_f32_e32 v37, v29, v14
	v_mul_f32_e32 v3, v30, v10
	v_fmac_f32_e32 v5, v29, v10
	;; [unrolled: 2-line block ×3, first 2 shown]
	v_fmac_f32_e32 v4, v29, v8
	v_fma_f32 v8, v29, v9, -v2
	v_fma_f32 v12, v29, v15, -v7
	v_sub_f32_e32 v18, v16, v37
	v_fma_f32 v9, v29, v11, -v3
	v_fma_f32 v11, v29, v13, -v6
	v_sub_f32_e32 v6, v25, v5
	v_fma_f32 v1, v29, v19, -v1
	v_sub_f32_e32 v2, v21, v0
	v_sub_f32_e32 v14, v23, v4
	;; [unrolled: 1-line block ×4, first 2 shown]
	v_dual_sub_f32 v3, v22, v1 :: v_dual_sub_f32 v10, v27, v36
	v_sub_f32_e32 v11, v28, v11
	v_sub_f32_e32 v19, v17, v12
	v_fma_f32 v0, v21, 2.0, -v2
	s_delay_alu instid0(VALU_DEP_4)
	v_fma_f32 v1, v22, 2.0, -v3
	v_fma_f32 v12, v23, 2.0, -v14
	;; [unrolled: 1-line block ×9, first 2 shown]
	ds_store_2addr_b64 v31, v[0:1], v[2:3] offset1:16
	ds_store_2addr_b64 v32, v[12:13], v[14:15] offset1:16
	;; [unrolled: 1-line block ×5, first 2 shown]
	global_wb scope:SCOPE_SE
	s_wait_dscnt 0x0
	s_barrier_signal -1
	s_barrier_wait -1
	global_inv scope:SCOPE_SE
	s_and_saveexec_b32 s1, s0
	s_cbranch_execz .LBB0_19
; %bb.18:
	v_add_nc_u32_e32 v8, 0x800, v46
	v_add_nc_u32_e32 v9, 0x1c00, v46
	v_add_nc_u32_e32 v16, 0x2800, v46
	ds_load_2addr_b64 v[0:3], v46 offset1:160
	ds_load_2addr_b64 v[4:7], v20 offset1:160
	ds_load_2addr_b64 v[12:15], v8 offset0:64 offset1:224
	ds_load_2addr_b64 v[8:11], v9 offset0:64 offset1:224
	ds_load_2addr_b64 v[16:19], v16 offset1:160
	ds_load_b64 v[44:45], v46 offset:12800
.LBB0_19:
	s_wait_alu 0xfffe
	s_or_b32 exec_lo, exec_lo, s1
	global_wb scope:SCOPE_SE
	s_wait_dscnt 0x0
	s_barrier_signal -1
	s_barrier_wait -1
	global_inv scope:SCOPE_SE
	s_and_saveexec_b32 s1, s0
	s_cbranch_execz .LBB0_21
; %bb.20:
	v_and_b32_e32 v47, 31, v40
	v_lshrrev_b32_e32 v48, 5, v40
	s_delay_alu instid0(VALU_DEP_2) | instskip(NEXT) | instid1(VALU_DEP_2)
	v_mul_u32_u24_e32 v20, 10, v47
	v_mul_u32_u24_e32 v48, 0x160, v48
	s_delay_alu instid0(VALU_DEP_2)
	v_lshlrev_b32_e32 v20, 3, v20
	s_clause 0x4
	global_load_b128 v[32:35], v20, s[4:5] offset:240
	global_load_b128 v[36:39], v20, s[4:5] offset:304
	;; [unrolled: 1-line block ×5, first 2 shown]
	s_wait_loadcnt 0x3
	v_dual_mul_f32 v49, v3, v33 :: v_dual_mul_f32 v50, v45, v39
	v_or_b32_e32 v47, v48, v47
	v_dual_mul_f32 v39, v44, v39 :: v_dual_mul_f32 v52, v19, v37
	s_wait_loadcnt 0x1
	v_dual_mul_f32 v51, v13, v35 :: v_dual_mul_f32 v56, v11, v29
	s_delay_alu instid0(VALU_DEP_3) | instskip(SKIP_2) | instid1(VALU_DEP_3)
	v_lshl_add_u32 v47, v47, 3, 0
	v_dual_mul_f32 v37, v18, v37 :: v_dual_mul_f32 v54, v17, v31
	v_mul_f32_e32 v55, v5, v27
	v_dual_mul_f32 v33, v2, v33 :: v_dual_add_nc_u32 v48, 0x800, v47
	v_dual_mul_f32 v35, v12, v35 :: v_dual_fmac_f32 v52, v18, v36
	s_wait_loadcnt 0x0
	v_dual_mul_f32 v53, v15, v25 :: v_dual_mul_f32 v58, v9, v23
	v_dual_mul_f32 v31, v16, v31 :: v_dual_fmac_f32 v56, v10, v28
	v_dual_mul_f32 v25, v14, v25 :: v_dual_fmac_f32 v50, v44, v38
	v_fmac_f32_e32 v49, v2, v32
	v_fma_f32 v38, v45, v38, -v39
	v_fma_f32 v2, v3, v32, -v33
	v_mul_f32_e32 v57, v7, v21
	v_fmac_f32_e32 v51, v12, v34
	v_mul_f32_e32 v23, v8, v23
	v_fmac_f32_e32 v54, v16, v30
	v_fmac_f32_e32 v55, v4, v26
	v_mul_f32_e32 v21, v6, v21
	v_dual_mul_f32 v29, v10, v29 :: v_dual_fmac_f32 v58, v8, v22
	v_fma_f32 v18, v19, v36, -v37
	v_fma_f32 v3, v13, v34, -v35
	v_fmac_f32_e32 v53, v14, v24
	v_fma_f32 v14, v17, v30, -v31
	v_fma_f32 v12, v15, v24, -v25
	v_fmac_f32_e32 v57, v6, v20
	v_sub_f32_e32 v10, v51, v52
	v_fma_f32 v6, v9, v22, -v23
	v_sub_f32_e32 v16, v55, v56
	v_fma_f32 v7, v7, v20, -v21
	v_sub_f32_e32 v24, v3, v18
	s_delay_alu instid0(VALU_DEP_3) | instskip(NEXT) | instid1(VALU_DEP_3)
	v_dual_sub_f32 v22, v2, v38 :: v_dual_mul_f32 v35, 0xbf0a6770, v16
	v_dual_add_f32 v20, v7, v6 :: v_dual_mul_f32 v27, v4, v27
	v_sub_f32_e32 v8, v49, v50
	v_fma_f32 v4, v11, v28, -v29
	v_dual_sub_f32 v13, v53, v54 :: v_dual_mul_f32 v62, 0x3f0a6770, v24
	s_delay_alu instid0(VALU_DEP_4) | instskip(NEXT) | instid1(VALU_DEP_4)
	v_fma_f32 v5, v5, v26, -v27
	v_dual_mul_f32 v44, 0xbe903f40, v8 :: v_dual_add_f32 v9, v2, v38
	s_delay_alu instid0(VALU_DEP_3)
	v_mul_f32_e32 v34, 0x3f68dda4, v13
	v_sub_f32_e32 v26, v12, v14
	v_sub_f32_e32 v19, v57, v58
	v_add_f32_e32 v11, v3, v18
	v_add_f32_e32 v15, v12, v14
	v_dual_add_f32 v17, v5, v4 :: v_dual_sub_f32 v30, v7, v6
	v_dual_add_f32 v2, v1, v2 :: v_dual_add_f32 v27, v0, v49
	v_mul_f32_e32 v68, 0xbf4178ce, v22
	v_sub_f32_e32 v28, v5, v4
	v_add_f32_e32 v23, v51, v52
	v_mul_f32_e32 v32, 0xbf7d64f0, v8
	v_dual_add_f32 v29, v55, v56 :: v_dual_mul_f32 v70, 0x3ed4b147, v9
	v_dual_mul_f32 v36, 0xbf4178ce, v19 :: v_dual_add_f32 v21, v49, v50
	v_mul_f32_e32 v64, 0xbe11bafb, v11
	v_dual_mul_f32 v49, 0xbf4178ce, v13 :: v_dual_mul_f32 v76, 0xbf4178ce, v24
	v_mul_f32_e32 v60, 0xbf7d64f0, v19
	v_dual_mul_f32 v61, 0xbe903f40, v22 :: v_dual_mul_f32 v86, 0xbe903f40, v28
	v_dual_mul_f32 v63, 0xbf27a4f4, v9 :: v_dual_fmamk_f32 v96, v20, 0xbf27a4f4, v36
	v_dual_mul_f32 v65, 0x3f575c64, v15 :: v_dual_mul_f32 v74, 0x3f575c64, v20
	v_dual_add_f32 v31, v57, v58 :: v_dual_mul_f32 v72, 0xbf75a155, v15
	v_dual_mul_f32 v33, 0x3e903f40, v10 :: v_dual_add_f32 v2, v2, v3
	v_mul_f32_e32 v39, 0x3e903f40, v24
	s_delay_alu instid0(VALU_DEP_4)
	v_dual_mul_f32 v45, 0x3f0a6770, v10 :: v_dual_fmamk_f32 v108, v13, 0x3f0a6770, v65
	v_mul_f32_e32 v69, 0x3f7d64f0, v24
	v_dual_mul_f32 v73, 0xbe11bafb, v17 :: v_dual_fmamk_f32 v92, v9, 0xbe11bafb, v32
	v_mul_f32_e32 v37, 0xbf7d64f0, v22
	v_dual_mul_f32 v75, 0xbf68dda4, v22 :: v_dual_mul_f32 v24, 0xbf68dda4, v24
	v_dual_mul_f32 v77, 0x3f575c64, v9 :: v_dual_fmamk_f32 v100, v11, 0x3f575c64, v45
	v_dual_mul_f32 v22, 0xbf0a6770, v22 :: v_dual_add_f32 v3, v27, v51
	v_mul_f32_e32 v82, 0xbf0a6770, v26
	v_mul_f32_e32 v27, 0xbf4178ce, v26
	;; [unrolled: 1-line block ×3, first 2 shown]
	v_dual_mul_f32 v83, 0x3e903f40, v26 :: v_dual_add_f32 v2, v2, v12
	v_dual_mul_f32 v26, 0xbf7d64f0, v26 :: v_dual_fmamk_f32 v107, v10, 0xbf7d64f0, v64
	v_mul_f32_e32 v88, 0xbf4178ce, v30
	v_fmamk_f32 v94, v15, 0x3ed4b147, v34
	v_fma_f32 v104, 0xbf75a155, v21, -v61
	v_fmamk_f32 v106, v8, 0x3f4178ce, v63
	v_fmac_f32_e32 v63, 0xbf4178ce, v8
	v_fmamk_f32 v101, v15, 0xbf27a4f4, v49
	v_fma_f32 v49, 0xbf27a4f4, v15, -v49
	v_fmac_f32_e32 v64, 0x3f7d64f0, v10
	v_mul_f32_e32 v79, 0xbe11bafb, v15
	v_fma_f32 v15, 0x3ed4b147, v15, -v34
	v_fmamk_f32 v34, v8, 0x3f68dda4, v70
	v_fmac_f32_e32 v61, 0xbf75a155, v21
	v_dual_add_f32 v25, v53, v54 :: v_dual_mul_f32 v66, 0xbf75a155, v17
	v_dual_mul_f32 v59, 0x3f68dda4, v16 :: v_dual_mul_f32 v90, 0x3f68dda4, v30
	v_dual_mul_f32 v67, 0x3ed4b147, v20 :: v_dual_mul_f32 v78, 0x3ed4b147, v11
	s_delay_alu instid0(VALU_DEP_3)
	v_dual_mul_f32 v81, 0xbf75a155, v20 :: v_dual_fmamk_f32 v116, v25, 0xbf75a155, v83
	v_mul_f32_e32 v91, 0x3f0a6770, v30
	v_fmamk_f32 v103, v20, 0xbe11bafb, v60
	v_fma_f32 v60, 0xbe11bafb, v20, -v60
	v_fma_f32 v20, 0xbf27a4f4, v20, -v36
	v_fmamk_f32 v36, v8, 0x3f0a6770, v77
	v_add_f32_e32 v34, v1, v34
	v_dual_fmac_f32 v70, 0xbf68dda4, v8 :: v_dual_add_f32 v61, v0, v61
	v_fmac_f32_e32 v77, 0xbf0a6770, v8
	v_fmamk_f32 v8, v21, 0x3f575c64, v22
	v_fmamk_f32 v99, v9, 0xbf75a155, v44
	v_fma_f32 v44, 0xbf75a155, v9, -v44
	v_dual_mul_f32 v71, 0xbf27a4f4, v11 :: v_dual_mul_f32 v80, 0xbf27a4f4, v17
	v_dual_mul_f32 v84, 0xbf0a6770, v28 :: v_dual_fmamk_f32 v113, v19, 0xbf0a6770, v74
	s_delay_alu instid0(VALU_DEP_3)
	v_dual_mul_f32 v89, 0xbf7d64f0, v30 :: v_dual_add_f32 v44, v1, v44
	v_fmamk_f32 v93, v11, 0xbf75a155, v33
	v_fmamk_f32 v95, v17, 0x3f575c64, v35
	v_dual_fmamk_f32 v102, v17, 0x3ed4b147, v59 :: v_dual_add_f32 v3, v3, v53
	v_fma_f32 v45, 0x3f575c64, v11, -v45
	v_fma_f32 v59, 0x3ed4b147, v17, -v59
	;; [unrolled: 1-line block ×3, first 2 shown]
	v_fmamk_f32 v33, v21, 0xbf27a4f4, v68
	v_fma_f32 v17, 0x3f575c64, v17, -v35
	v_fmamk_f32 v35, v21, 0x3ed4b147, v75
	v_fma_f32 v68, 0xbf27a4f4, v21, -v68
	v_fma_f32 v75, 0x3ed4b147, v21, -v75
	v_dual_mul_f32 v30, 0xbe903f40, v30 :: v_dual_fmamk_f32 v111, v13, 0xbe903f40, v72
	v_fmamk_f32 v109, v16, 0x3e903f40, v66
	v_fma_f32 v9, 0xbe11bafb, v9, -v32
	v_fmamk_f32 v110, v10, 0x3f4178ce, v71
	v_fmamk_f32 v112, v16, 0xbf7d64f0, v73
	v_fma_f32 v97, 0xbe11bafb, v21, -v37
	v_mul_f32_e32 v85, 0x3f68dda4, v28
	v_dual_fmac_f32 v37, 0xbe11bafb, v21 :: v_dual_add_f32 v36, v1, v36
	v_fma_f32 v21, 0x3f575c64, v21, -v22
	v_fmamk_f32 v22, v23, 0xbe11bafb, v69
	v_mul_f32_e32 v87, 0x3f7d64f0, v28
	v_mul_f32_e32 v28, 0xbf4178ce, v28
	v_fmamk_f32 v12, v23, 0xbf27a4f4, v76
	v_dual_fmamk_f32 v53, v10, 0x3f68dda4, v78 :: v_dual_add_f32 v44, v45, v44
	v_fmac_f32_e32 v71, 0xbf4178ce, v10
	v_fmac_f32_e32 v72, 0x3e903f40, v13
	;; [unrolled: 1-line block ×3, first 2 shown]
	v_dual_fmac_f32 v73, 0x3f7d64f0, v16 :: v_dual_add_f32 v2, v2, v5
	v_dual_fmac_f32 v74, 0x3f0a6770, v19 :: v_dual_add_f32 v9, v1, v9
	v_fma_f32 v76, 0xbf27a4f4, v23, -v76
	v_fma_f32 v118, 0x3f575c64, v29, -v84
	v_dual_fmac_f32 v84, 0x3f575c64, v29 :: v_dual_add_f32 v35, v0, v35
	v_dual_fmac_f32 v65, 0xbf0a6770, v13 :: v_dual_add_f32 v8, v0, v8
	v_fmamk_f32 v32, v19, 0xbf68dda4, v67
	v_add_f32_e32 v68, v0, v68
	v_dual_fmac_f32 v78, 0xbf68dda4, v10 :: v_dual_add_f32 v33, v0, v33
	v_fmamk_f32 v10, v13, 0x3f7d64f0, v79
	v_fmac_f32_e32 v79, 0xbf7d64f0, v13
	v_fmamk_f32 v13, v16, 0x3f4178ce, v80
	v_fmac_f32_e32 v80, 0xbf4178ce, v16
	v_fmamk_f32 v16, v19, 0x3e903f40, v81
	v_dual_fmac_f32 v67, 0x3f68dda4, v19 :: v_dual_add_f32 v22, v22, v33
	v_fmac_f32_e32 v81, 0xbe903f40, v19
	v_dual_fmamk_f32 v19, v23, 0x3ed4b147, v24 :: v_dual_add_f32 v2, v2, v7
	v_add_f32_e32 v75, v0, v75
	v_fma_f32 v98, 0xbf75a155, v23, -v39
	v_fma_f32 v105, 0x3f575c64, v23, -v62
	v_fmac_f32_e32 v62, 0x3f575c64, v23
	v_fmac_f32_e32 v39, 0xbf75a155, v23
	v_fma_f32 v69, 0xbe11bafb, v23, -v69
	v_fma_f32 v23, 0x3ed4b147, v23, -v24
	;; [unrolled: 1-line block ×3, first 2 shown]
	v_fmac_f32_e32 v27, 0xbf27a4f4, v25
	v_fma_f32 v114, 0x3ed4b147, v25, -v51
	v_dual_fmac_f32 v51, 0x3ed4b147, v25 :: v_dual_add_f32 v8, v19, v8
	v_dual_fmamk_f32 v115, v25, 0x3f575c64, v82 :: v_dual_fmamk_f32 v124, v31, 0x3f575c64, v91
	v_fma_f32 v82, 0x3f575c64, v25, -v82
	v_fma_f32 v83, 0xbf75a155, v25, -v83
	v_fmamk_f32 v117, v25, 0xbe11bafb, v26
	v_fma_f32 v25, 0xbe11bafb, v25, -v26
	v_fma_f32 v26, 0x3ed4b147, v29, -v85
	v_fmac_f32_e32 v85, 0x3ed4b147, v29
	v_fmamk_f32 v119, v29, 0xbf75a155, v86
	v_fma_f32 v86, 0xbf75a155, v29, -v86
	v_fmamk_f32 v120, v29, 0xbe11bafb, v87
	v_fma_f32 v87, 0xbe11bafb, v29, -v87
	v_dual_fmamk_f32 v121, v29, 0xbf27a4f4, v28 :: v_dual_add_f32 v22, v115, v22
	v_fma_f32 v28, 0xbf27a4f4, v29, -v28
	v_fma_f32 v29, 0xbe11bafb, v31, -v89
	;; [unrolled: 1-line block ×3, first 2 shown]
	v_fmac_f32_e32 v88, 0xbf27a4f4, v31
	v_fma_f32 v91, 0x3f575c64, v31, -v91
	v_dual_add_f32 v37, v0, v37 :: v_dual_add_f32 v2, v2, v6
	v_dual_add_f32 v33, v110, v34 :: v_dual_add_f32 v12, v12, v35
	v_dual_fmac_f32 v89, 0xbe11bafb, v31 :: v_dual_add_f32 v34, v53, v36
	v_fmamk_f32 v123, v31, 0x3ed4b147, v90
	v_fma_f32 v90, 0x3ed4b147, v31, -v90
	v_dual_add_f32 v36, v76, v75 :: v_dual_fmamk_f32 v125, v31, 0xbf75a155, v30
	v_add_f32_e32 v8, v117, v8
	v_fma_f32 v30, 0xbf75a155, v31, -v30
	v_dual_add_f32 v31, v1, v92 :: v_dual_add_f32 v92, v0, v97
	v_add_f32_e32 v97, v1, v99
	v_add_f32_e32 v99, v0, v104
	;; [unrolled: 1-line block ×3, first 2 shown]
	v_dual_add_f32 v12, v116, v12 :: v_dual_add_f32 v3, v3, v55
	v_add_f32_e32 v104, v1, v106
	v_add_f32_e32 v10, v10, v34
	s_delay_alu instid0(VALU_DEP_4) | instskip(NEXT) | instid1(VALU_DEP_4)
	v_add_f32_e32 v0, v23, v0
	v_dual_add_f32 v12, v120, v12 :: v_dual_add_f32 v3, v3, v57
	v_add_f32_e32 v70, v1, v70
	s_delay_alu instid0(VALU_DEP_4) | instskip(NEXT) | instid1(VALU_DEP_4)
	v_add_f32_e32 v13, v13, v10
	v_add_f32_e32 v0, v25, v0
	;; [unrolled: 1-line block ×4, first 2 shown]
	v_dual_add_f32 v5, v93, v31 :: v_dual_add_f32 v10, v124, v12
	s_delay_alu instid0(VALU_DEP_4) | instskip(NEXT) | instid1(VALU_DEP_4)
	v_add_f32_e32 v28, v28, v0
	v_add_f32_e32 v24, v24, v55
	s_delay_alu instid0(VALU_DEP_4) | instskip(SKIP_1) | instid1(VALU_DEP_3)
	v_dual_add_f32 v34, v3, v56 :: v_dual_add_f32 v63, v1, v63
	v_dual_add_f32 v1, v1, v77 :: v_dual_add_f32 v22, v119, v22
	v_add_f32_e32 v24, v26, v24
	v_add_f32_e32 v45, v62, v61
	s_delay_alu instid0(VALU_DEP_4)
	v_add_f32_e32 v7, v64, v63
	v_add_f32_e32 v19, v69, v68
	;; [unrolled: 1-line block ×5, first 2 shown]
	v_dual_add_f32 v31, v100, v97 :: v_dual_add_f32 v6, v65, v7
	v_add_f32_e32 v7, v82, v19
	s_delay_alu instid0(VALU_DEP_3) | instskip(SKIP_1) | instid1(VALU_DEP_4)
	v_dual_add_f32 v61, v107, v104 :: v_dual_add_f32 v26, v85, v27
	v_add_f32_e32 v9, v11, v9
	v_add_f32_e32 v23, v101, v31
	;; [unrolled: 1-line block ×4, first 2 shown]
	s_delay_alu instid0(VALU_DEP_2) | instskip(SKIP_2) | instid1(VALU_DEP_4)
	v_add_f32_e32 v25, v59, v31
	v_dual_add_f32 v31, v2, v4 :: v_dual_add_f32 v4, v89, v26
	v_add_f32_e32 v9, v15, v9
	v_add_f32_e32 v11, v51, v11
	s_delay_alu instid0(VALU_DEP_3) | instskip(SKIP_1) | instid1(VALU_DEP_4)
	v_dual_add_f32 v1, v78, v1 :: v_dual_add_f32 v16, v31, v14
	v_add_f32_e32 v2, v29, v24
	v_add_f32_e32 v9, v17, v9
	s_delay_alu instid0(VALU_DEP_4) | instskip(SKIP_4) | instid1(VALU_DEP_4)
	v_add_f32_e32 v11, v84, v11
	v_add_f32_e32 v17, v121, v8
	;; [unrolled: 1-line block ×4, first 2 shown]
	v_dual_add_f32 v9, v20, v9 :: v_dual_add_f32 v20, v34, v54
	v_add_f32_e32 v12, v125, v17
	v_dual_add_f32 v5, v94, v5 :: v_dual_add_f32 v8, v88, v11
	s_delay_alu instid0(VALU_DEP_3) | instskip(SKIP_3) | instid1(VALU_DEP_4)
	v_dual_add_f32 v15, v111, v33 :: v_dual_add_f32 v20, v20, v52
	v_add_f32_e32 v21, v114, v21
	v_dual_add_f32 v33, v83, v36 :: v_dual_add_f32 v36, v86, v7
	v_add_f32_e32 v37, v108, v61
	v_add_f32_e32 v20, v20, v50
	;; [unrolled: 1-line block ×12, first 2 shown]
	v_dual_add_f32 v0, v122, v21 :: v_dual_add_f32 v21, v16, v18
	v_add_f32_e32 v37, v80, v1
	v_add_f32_e32 v11, v113, v15
	;; [unrolled: 1-line block ×4, first 2 shown]
	v_dual_add_f32 v7, v32, v27 :: v_dual_add_f32 v6, v123, v22
	v_add_f32_e32 v3, v103, v23
	v_add_f32_e32 v15, v67, v35
	v_dual_add_f32 v17, v74, v19 :: v_dual_add_f32 v16, v91, v33
	v_add_f32_e32 v21, v21, v38
	v_dual_add_f32 v19, v81, v37 :: v_dual_add_f32 v18, v30, v28
	ds_store_2addr_b64 v47, v[10:11], v[8:9] offset0:64 offset1:96
	ds_store_2addr_b64 v47, v[6:7], v[4:5] offset0:128 offset1:160
	;; [unrolled: 1-line block ×3, first 2 shown]
	ds_store_2addr_b64 v48, v[0:1], v[16:17] offset1:32
	ds_store_2addr_b64 v47, v[20:21], v[12:13] offset1:32
	ds_store_b64 v47, v[18:19] offset:2560
.LBB0_21:
	s_wait_alu 0xfffe
	s_or_b32 exec_lo, exec_lo, s1
	v_dual_mov_b32 v1, 0 :: v_dual_lshlrev_b32 v0, 2, v40
	global_wb scope:SCOPE_SE
	s_wait_dscnt 0x0
	s_barrier_signal -1
	s_barrier_wait -1
	global_inv scope:SCOPE_SE
	v_lshlrev_b64_e32 v[2:3], 3, v[0:1]
	s_delay_alu instid0(VALU_DEP_1) | instskip(SKIP_1) | instid1(VALU_DEP_2)
	v_add_co_u32 v6, s0, s4, v2
	s_wait_alu 0xf1ff
	v_add_co_ci_u32_e64 v7, s0, s5, v3, s0
	global_load_b128 v[2:5], v[6:7], off offset:2800
	v_lshlrev_b32_e32 v0, 2, v41
	global_load_b128 v[6:9], v[6:7], off offset:2816
	v_add_nc_u32_e32 v38, 0x1400, v46
	v_add_nc_u32_e32 v41, 0x2c00, v46
	v_lshlrev_b64_e32 v[10:11], 3, v[0:1]
	v_add_nc_u32_e32 v0, 0xa00, v46
	s_delay_alu instid0(VALU_DEP_2) | instskip(SKIP_1) | instid1(VALU_DEP_3)
	v_add_co_u32 v14, s0, s4, v10
	s_wait_alu 0xf1ff
	v_add_co_ci_u32_e64 v15, s0, s5, v11, s0
	s_clause 0x1
	global_load_b128 v[10:13], v[14:15], off offset:2800
	global_load_b128 v[14:17], v[14:15], off offset:2816
	ds_load_2addr_b64 v[18:21], v0 offset0:32 offset1:208
	s_wait_loadcnt_dscnt 0x300
	v_dual_mul_f32 v44, v3, v19 :: v_dual_add_nc_u32 v39, 0x2000, v46
	ds_load_2addr_b64 v[22:25], v38 offset0:64 offset1:240
	ds_load_2addr_b64 v[26:29], v39 offset0:32 offset1:208
	ds_load_2addr_b64 v[30:33], v41 offset1:176
	ds_load_2addr_b64 v[34:37], v46 offset1:176
	v_mul_f32_e32 v3, v3, v18
	global_wb scope:SCOPE_SE
	s_wait_loadcnt_dscnt 0x0
	s_barrier_signal -1
	v_fmac_f32_e32 v44, v2, v18
	s_barrier_wait -1
	v_fma_f32 v2, v2, v19, -v3
	global_inv scope:SCOPE_SE
	v_mul_f32_e32 v45, v5, v23
	v_mul_f32_e32 v5, v5, v22
	;; [unrolled: 1-line block ×3, first 2 shown]
	v_dual_mul_f32 v7, v7, v26 :: v_dual_mul_f32 v48, v9, v31
	v_mul_f32_e32 v9, v9, v30
	v_dual_fmac_f32 v45, v4, v22 :: v_dual_mul_f32 v22, v33, v17
	s_delay_alu instid0(VALU_DEP_4) | instskip(NEXT) | instid1(VALU_DEP_4)
	v_fmac_f32_e32 v47, v6, v26
	v_dual_fmac_f32 v48, v8, v30 :: v_dual_mul_f32 v19, v29, v15
	s_delay_alu instid0(VALU_DEP_4)
	v_fma_f32 v18, v8, v31, -v9
	v_mul_f32_e32 v8, v28, v15
	v_fma_f32 v7, v6, v27, -v7
	v_mul_f32_e32 v6, v11, v21
	v_fma_f32 v3, v4, v23, -v5
	v_dual_mul_f32 v4, v11, v20 :: v_dual_mul_f32 v11, v25, v13
	s_delay_alu instid0(VALU_DEP_3) | instskip(SKIP_2) | instid1(VALU_DEP_4)
	v_dual_mul_f32 v5, v24, v13 :: v_dual_fmac_f32 v6, v10, v20
	v_mul_f32_e32 v9, v32, v17
	v_fmac_f32_e32 v22, v32, v16
	v_fmac_f32_e32 v11, v24, v12
	s_delay_alu instid0(VALU_DEP_4)
	v_fma_f32 v12, v25, v12, -v5
	v_add_f32_e32 v5, v45, v47
	v_fma_f32 v10, v10, v21, -v4
	v_dual_fmac_f32 v19, v28, v14 :: v_dual_add_f32 v24, v3, v7
	v_fma_f32 v15, v29, v14, -v8
	v_add_f32_e32 v4, v34, v44
	v_fma_f32 v20, v33, v16, -v9
	v_dual_sub_f32 v13, v2, v18 :: v_dual_add_f32 v16, v44, v48
	v_sub_f32_e32 v8, v44, v45
	v_dual_sub_f32 v9, v48, v47 :: v_dual_sub_f32 v30, v3, v2
	v_dual_sub_f32 v17, v45, v44 :: v_dual_sub_f32 v28, v18, v7
	;; [unrolled: 1-line block ×3, first 2 shown]
	v_dual_add_f32 v23, v35, v2 :: v_dual_add_f32 v32, v4, v45
	v_sub_f32_e32 v31, v7, v18
	v_sub_f32_e32 v27, v2, v3
	v_add_f32_e32 v29, v2, v18
	v_fma_f32 v2, -0.5, v5, v34
	v_dual_sub_f32 v14, v3, v7 :: v_dual_sub_f32 v25, v44, v48
	v_add_f32_e32 v33, v8, v9
	v_fma_f32 v4, -0.5, v16, v34
	v_dual_sub_f32 v34, v11, v6 :: v_dual_add_f32 v21, v17, v21
	v_sub_f32_e32 v50, v11, v19
	v_dual_add_f32 v9, v23, v3 :: v_dual_add_f32 v44, v37, v10
	v_fma_f32 v3, -0.5, v24, v35
	v_add_f32_e32 v24, v30, v31
	v_dual_add_f32 v16, v36, v6 :: v_dual_add_f32 v17, v11, v19
	v_sub_f32_e32 v54, v12, v10
	v_add_f32_e32 v31, v6, v22
	v_add_f32_e32 v45, v12, v15
	v_dual_add_f32 v23, v27, v28 :: v_dual_sub_f32 v52, v20, v15
	v_sub_f32_e32 v28, v12, v15
	v_fma_f32 v5, -0.5, v29, v35
	v_sub_f32_e32 v29, v6, v11
	v_dual_sub_f32 v49, v6, v22 :: v_dual_add_f32 v16, v16, v11
	v_fmamk_f32 v6, v13, 0xbf737871, v2
	v_dual_fmac_f32 v2, 0x3f737871, v13 :: v_dual_add_f32 v53, v10, v20
	v_dual_sub_f32 v27, v10, v20 :: v_dual_add_f32 v32, v32, v47
	v_dual_sub_f32 v30, v22, v19 :: v_dual_sub_f32 v35, v19, v22
	v_fmamk_f32 v8, v14, 0x3f737871, v4
	v_dual_sub_f32 v51, v10, v12 :: v_dual_fmac_f32 v6, 0xbf167918, v14
	v_dual_fmac_f32 v4, 0xbf737871, v14 :: v_dual_add_f32 v47, v9, v7
	v_fma_f32 v10, -0.5, v17, v36
	v_fma_f32 v36, -0.5, v31, v36
	s_delay_alu instid0(VALU_DEP_3)
	v_dual_add_f32 v17, v44, v12 :: v_dual_fmac_f32 v4, 0x3f167918, v13
	v_fma_f32 v11, -0.5, v45, v37
	v_dual_fmac_f32 v2, 0x3f167918, v14 :: v_dual_fmac_f32 v37, -0.5, v53
	v_sub_f32_e32 v55, v15, v20
	v_fmamk_f32 v7, v25, 0x3f737871, v3
	v_fmac_f32_e32 v3, 0xbf737871, v25
	v_dual_fmamk_f32 v9, v26, 0xbf737871, v5 :: v_dual_fmamk_f32 v14, v27, 0xbf737871, v10
	v_dual_fmac_f32 v5, 0x3f737871, v26 :: v_dual_fmac_f32 v10, 0x3f737871, v27
	v_dual_add_f32 v29, v29, v30 :: v_dual_fmac_f32 v8, 0xbf167918, v13
	v_add_f32_e32 v31, v51, v52
	v_dual_add_f32 v12, v32, v48 :: v_dual_add_f32 v13, v47, v18
	v_fmac_f32_e32 v6, 0x3e9e377a, v33
	v_add_f32_e32 v18, v16, v19
	v_dual_fmamk_f32 v16, v28, 0x3f737871, v36 :: v_dual_add_f32 v19, v17, v15
	v_fmac_f32_e32 v2, 0x3e9e377a, v33
	v_fmamk_f32 v15, v49, 0x3f737871, v11
	v_dual_fmac_f32 v36, 0xbf737871, v28 :: v_dual_fmamk_f32 v17, v50, 0xbf737871, v37
	v_fmac_f32_e32 v37, 0x3f737871, v50
	v_dual_fmac_f32 v11, 0xbf737871, v49 :: v_dual_add_f32 v30, v34, v35
	v_dual_add_f32 v34, v54, v55 :: v_dual_fmac_f32 v7, 0x3f167918, v26
	v_fmac_f32_e32 v10, 0x3f167918, v28
	v_dual_fmac_f32 v3, 0xbf167918, v26 :: v_dual_fmac_f32 v14, 0xbf167918, v28
	v_dual_fmac_f32 v9, 0x3f167918, v25 :: v_dual_add_f32 v18, v18, v22
	v_dual_fmac_f32 v5, 0xbf167918, v25 :: v_dual_fmac_f32 v16, 0xbf167918, v27
	v_fmac_f32_e32 v15, 0x3f167918, v50
	v_dual_fmac_f32 v17, 0x3f167918, v49 :: v_dual_fmac_f32 v36, 0x3f167918, v27
	v_add_f32_e32 v19, v19, v20
	v_fmac_f32_e32 v37, 0xbf167918, v49
	v_fmac_f32_e32 v11, 0xbf167918, v50
	v_dual_fmac_f32 v8, 0x3e9e377a, v21 :: v_dual_fmac_f32 v7, 0x3e9e377a, v23
	v_dual_fmac_f32 v9, 0x3e9e377a, v24 :: v_dual_fmac_f32 v14, 0x3e9e377a, v29
	;; [unrolled: 1-line block ×4, first 2 shown]
	v_fmac_f32_e32 v3, 0x3e9e377a, v23
	v_dual_fmac_f32 v5, 0x3e9e377a, v24 :: v_dual_fmac_f32 v10, 0x3e9e377a, v29
	v_dual_fmac_f32 v36, 0x3e9e377a, v30 :: v_dual_fmac_f32 v11, 0x3e9e377a, v31
	v_fmac_f32_e32 v37, 0x3e9e377a, v34
	ds_store_2addr_b64 v46, v[12:13], v[18:19] offset1:176
	ds_store_2addr_b64 v0, v[6:7], v[14:15] offset0:32 offset1:208
	ds_store_2addr_b64 v38, v[8:9], v[16:17] offset0:64 offset1:240
	;; [unrolled: 1-line block ×3, first 2 shown]
	ds_store_2addr_b64 v41, v[2:3], v[10:11] offset1:176
	global_wb scope:SCOPE_SE
	s_wait_dscnt 0x0
	s_barrier_signal -1
	s_barrier_wait -1
	global_inv scope:SCOPE_SE
	s_and_saveexec_b32 s0, vcc_lo
	s_cbranch_execz .LBB0_23
; %bb.22:
	v_dual_mov_b32 v41, v1 :: v_dual_add_nc_u32 v0, 0xb0, v40
	v_lshl_add_u32 v20, v40, 3, 0
	v_add_co_u32 v24, vcc_lo, s8, v42
	s_delay_alu instid0(VALU_DEP_3)
	v_lshlrev_b64_e32 v[6:7], 3, v[40:41]
	s_wait_alu 0xfffd
	v_add_co_ci_u32_e32 v25, vcc_lo, s9, v43, vcc_lo
	v_add_nc_u32_e32 v8, 0xa00, v20
	ds_load_2addr_b64 v[2:5], v20 offset1:176
	v_lshlrev_b64_e32 v[10:11], 3, v[0:1]
	v_add_nc_u32_e32 v0, 0x160, v40
	v_add_co_u32 v12, vcc_lo, v24, v6
	s_wait_alu 0xfffd
	v_add_co_ci_u32_e32 v13, vcc_lo, v25, v7, vcc_lo
	ds_load_2addr_b64 v[6:9], v8 offset0:32 offset1:208
	v_lshlrev_b64_e32 v[14:15], 3, v[0:1]
	v_add_nc_u32_e32 v0, 0x210, v40
	v_add_co_u32 v10, vcc_lo, v24, v10
	s_wait_alu 0xfffd
	v_add_co_ci_u32_e32 v11, vcc_lo, v25, v11, vcc_lo
	s_delay_alu instid0(VALU_DEP_3) | instskip(SKIP_4) | instid1(VALU_DEP_3)
	v_lshlrev_b64_e32 v[16:17], 3, v[0:1]
	v_add_nc_u32_e32 v0, 0x2c0, v40
	v_add_co_u32 v14, vcc_lo, v24, v14
	s_wait_alu 0xfffd
	v_add_co_ci_u32_e32 v15, vcc_lo, v25, v15, vcc_lo
	v_lshlrev_b64_e32 v[18:19], 3, v[0:1]
	v_add_nc_u32_e32 v0, 0x370, v40
	v_add_co_u32 v16, vcc_lo, v24, v16
	s_wait_alu 0xfffd
	v_add_co_ci_u32_e32 v17, vcc_lo, v25, v17, vcc_lo
	s_wait_dscnt 0x1
	s_clause 0x1
	global_store_b64 v[12:13], v[2:3], off
	global_store_b64 v[10:11], v[4:5], off
	s_wait_dscnt 0x0
	s_clause 0x1
	global_store_b64 v[14:15], v[6:7], off
	global_store_b64 v[16:17], v[8:9], off
	v_lshlrev_b64_e32 v[6:7], 3, v[0:1]
	v_add_nc_u32_e32 v0, 0x420, v40
	v_add_nc_u32_e32 v21, 0x1400, v20
	v_add_co_u32 v14, vcc_lo, v24, v18
	v_add_nc_u32_e32 v8, 0x2000, v20
	s_delay_alu instid0(VALU_DEP_4)
	v_lshlrev_b64_e32 v[10:11], 3, v[0:1]
	v_add_nc_u32_e32 v0, 0x4d0, v40
	s_wait_alu 0xfffd
	v_add_co_ci_u32_e32 v15, vcc_lo, v25, v19, vcc_lo
	v_add_co_u32 v16, vcc_lo, v24, v6
	v_add_nc_u32_e32 v12, 0x2c00, v20
	ds_load_2addr_b64 v[2:5], v21 offset0:64 offset1:240
	s_wait_alu 0xfffd
	v_add_co_ci_u32_e32 v17, vcc_lo, v25, v7, vcc_lo
	ds_load_2addr_b64 v[6:9], v8 offset0:32 offset1:208
	v_lshlrev_b64_e32 v[18:19], 3, v[0:1]
	v_add_nc_u32_e32 v0, 0x580, v40
	v_add_co_u32 v20, vcc_lo, v24, v10
	s_wait_alu 0xfffd
	v_add_co_ci_u32_e32 v21, vcc_lo, v25, v11, vcc_lo
	ds_load_2addr_b64 v[10:13], v12 offset1:176
	v_lshlrev_b64_e32 v[22:23], 3, v[0:1]
	v_add_nc_u32_e32 v0, 0x630, v40
	v_add_co_u32 v18, vcc_lo, v24, v18
	s_wait_alu 0xfffd
	v_add_co_ci_u32_e32 v19, vcc_lo, v25, v19, vcc_lo
	s_delay_alu instid0(VALU_DEP_3) | instskip(SKIP_3) | instid1(VALU_DEP_3)
	v_lshlrev_b64_e32 v[0:1], 3, v[0:1]
	v_add_co_u32 v22, vcc_lo, v24, v22
	s_wait_alu 0xfffd
	v_add_co_ci_u32_e32 v23, vcc_lo, v25, v23, vcc_lo
	v_add_co_u32 v0, vcc_lo, v24, v0
	s_wait_alu 0xfffd
	v_add_co_ci_u32_e32 v1, vcc_lo, v25, v1, vcc_lo
	s_wait_dscnt 0x2
	s_clause 0x1
	global_store_b64 v[14:15], v[2:3], off
	global_store_b64 v[16:17], v[4:5], off
	s_wait_dscnt 0x1
	s_clause 0x1
	global_store_b64 v[20:21], v[6:7], off
	global_store_b64 v[18:19], v[8:9], off
	;; [unrolled: 4-line block ×3, first 2 shown]
.LBB0_23:
	s_nop 0
	s_sendmsg sendmsg(MSG_DEALLOC_VGPRS)
	s_endpgm
	.section	.rodata,"a",@progbits
	.p2align	6, 0x0
	.amdhsa_kernel fft_rtc_back_len1760_factors_2_2_2_2_2_11_5_wgs_176_tpt_176_halfLds_sp_ip_CI_unitstride_sbrr_C2R_dirReg
		.amdhsa_group_segment_fixed_size 0
		.amdhsa_private_segment_fixed_size 0
		.amdhsa_kernarg_size 88
		.amdhsa_user_sgpr_count 2
		.amdhsa_user_sgpr_dispatch_ptr 0
		.amdhsa_user_sgpr_queue_ptr 0
		.amdhsa_user_sgpr_kernarg_segment_ptr 1
		.amdhsa_user_sgpr_dispatch_id 0
		.amdhsa_user_sgpr_private_segment_size 0
		.amdhsa_wavefront_size32 1
		.amdhsa_uses_dynamic_stack 0
		.amdhsa_enable_private_segment 0
		.amdhsa_system_sgpr_workgroup_id_x 1
		.amdhsa_system_sgpr_workgroup_id_y 0
		.amdhsa_system_sgpr_workgroup_id_z 0
		.amdhsa_system_sgpr_workgroup_info 0
		.amdhsa_system_vgpr_workitem_id 0
		.amdhsa_next_free_vgpr 126
		.amdhsa_next_free_sgpr 32
		.amdhsa_reserve_vcc 1
		.amdhsa_float_round_mode_32 0
		.amdhsa_float_round_mode_16_64 0
		.amdhsa_float_denorm_mode_32 3
		.amdhsa_float_denorm_mode_16_64 3
		.amdhsa_fp16_overflow 0
		.amdhsa_workgroup_processor_mode 1
		.amdhsa_memory_ordered 1
		.amdhsa_forward_progress 0
		.amdhsa_round_robin_scheduling 0
		.amdhsa_exception_fp_ieee_invalid_op 0
		.amdhsa_exception_fp_denorm_src 0
		.amdhsa_exception_fp_ieee_div_zero 0
		.amdhsa_exception_fp_ieee_overflow 0
		.amdhsa_exception_fp_ieee_underflow 0
		.amdhsa_exception_fp_ieee_inexact 0
		.amdhsa_exception_int_div_zero 0
	.end_amdhsa_kernel
	.text
.Lfunc_end0:
	.size	fft_rtc_back_len1760_factors_2_2_2_2_2_11_5_wgs_176_tpt_176_halfLds_sp_ip_CI_unitstride_sbrr_C2R_dirReg, .Lfunc_end0-fft_rtc_back_len1760_factors_2_2_2_2_2_11_5_wgs_176_tpt_176_halfLds_sp_ip_CI_unitstride_sbrr_C2R_dirReg
                                        ; -- End function
	.section	.AMDGPU.csdata,"",@progbits
; Kernel info:
; codeLenInByte = 9136
; NumSgprs: 34
; NumVgprs: 126
; ScratchSize: 0
; MemoryBound: 0
; FloatMode: 240
; IeeeMode: 1
; LDSByteSize: 0 bytes/workgroup (compile time only)
; SGPRBlocks: 4
; VGPRBlocks: 15
; NumSGPRsForWavesPerEU: 34
; NumVGPRsForWavesPerEU: 126
; Occupancy: 10
; WaveLimiterHint : 1
; COMPUTE_PGM_RSRC2:SCRATCH_EN: 0
; COMPUTE_PGM_RSRC2:USER_SGPR: 2
; COMPUTE_PGM_RSRC2:TRAP_HANDLER: 0
; COMPUTE_PGM_RSRC2:TGID_X_EN: 1
; COMPUTE_PGM_RSRC2:TGID_Y_EN: 0
; COMPUTE_PGM_RSRC2:TGID_Z_EN: 0
; COMPUTE_PGM_RSRC2:TIDIG_COMP_CNT: 0
	.text
	.p2alignl 7, 3214868480
	.fill 96, 4, 3214868480
	.type	__hip_cuid_f4bb9e3a76cc0cbf,@object ; @__hip_cuid_f4bb9e3a76cc0cbf
	.section	.bss,"aw",@nobits
	.globl	__hip_cuid_f4bb9e3a76cc0cbf
__hip_cuid_f4bb9e3a76cc0cbf:
	.byte	0                               ; 0x0
	.size	__hip_cuid_f4bb9e3a76cc0cbf, 1

	.ident	"AMD clang version 19.0.0git (https://github.com/RadeonOpenCompute/llvm-project roc-6.4.0 25133 c7fe45cf4b819c5991fe208aaa96edf142730f1d)"
	.section	".note.GNU-stack","",@progbits
	.addrsig
	.addrsig_sym __hip_cuid_f4bb9e3a76cc0cbf
	.amdgpu_metadata
---
amdhsa.kernels:
  - .args:
      - .actual_access:  read_only
        .address_space:  global
        .offset:         0
        .size:           8
        .value_kind:     global_buffer
      - .offset:         8
        .size:           8
        .value_kind:     by_value
      - .actual_access:  read_only
        .address_space:  global
        .offset:         16
        .size:           8
        .value_kind:     global_buffer
      - .actual_access:  read_only
        .address_space:  global
        .offset:         24
        .size:           8
        .value_kind:     global_buffer
      - .offset:         32
        .size:           8
        .value_kind:     by_value
      - .actual_access:  read_only
        .address_space:  global
        .offset:         40
        .size:           8
        .value_kind:     global_buffer
      - .actual_access:  read_only
        .address_space:  global
        .offset:         48
        .size:           8
        .value_kind:     global_buffer
      - .offset:         56
        .size:           4
        .value_kind:     by_value
      - .actual_access:  read_only
        .address_space:  global
        .offset:         64
        .size:           8
        .value_kind:     global_buffer
      - .actual_access:  read_only
        .address_space:  global
        .offset:         72
        .size:           8
        .value_kind:     global_buffer
      - .address_space:  global
        .offset:         80
        .size:           8
        .value_kind:     global_buffer
    .group_segment_fixed_size: 0
    .kernarg_segment_align: 8
    .kernarg_segment_size: 88
    .language:       OpenCL C
    .language_version:
      - 2
      - 0
    .max_flat_workgroup_size: 176
    .name:           fft_rtc_back_len1760_factors_2_2_2_2_2_11_5_wgs_176_tpt_176_halfLds_sp_ip_CI_unitstride_sbrr_C2R_dirReg
    .private_segment_fixed_size: 0
    .sgpr_count:     34
    .sgpr_spill_count: 0
    .symbol:         fft_rtc_back_len1760_factors_2_2_2_2_2_11_5_wgs_176_tpt_176_halfLds_sp_ip_CI_unitstride_sbrr_C2R_dirReg.kd
    .uniform_work_group_size: 1
    .uses_dynamic_stack: false
    .vgpr_count:     126
    .vgpr_spill_count: 0
    .wavefront_size: 32
    .workgroup_processor_mode: 1
amdhsa.target:   amdgcn-amd-amdhsa--gfx1201
amdhsa.version:
  - 1
  - 2
...

	.end_amdgpu_metadata
